;; amdgpu-corpus repo=zjin-lcf/HeCBench kind=compiled arch=gfx1201 opt=O3
	.amdgcn_target "amdgcn-amd-amdhsa--gfx1201"
	.amdhsa_code_object_version 6
	.text
	.protected	_Z7kernel1PiPKiiiiii    ; -- Begin function _Z7kernel1PiPKiiiiii
	.globl	_Z7kernel1PiPKiiiiii
	.p2align	8
	.type	_Z7kernel1PiPKiiiiii,@function
_Z7kernel1PiPKiiiiii:                   ; @_Z7kernel1PiPKiiiiii
; %bb.0:
	s_load_b256 s[16:23], s[0:1], 0x0
	s_not_b32 s2, ttmp9
	s_lshl_b32 s3, ttmp9, 4
	s_load_b32 s33, s[0:1], 0x20
	v_cmp_eq_u32_e32 vcc_lo, 0, v0
	s_wait_kmcnt 0x0
	s_add_co_i32 s2, s23, s2
	s_add_co_i32 s0, s21, s3
	s_lshl_b32 s2, s2, 4
	s_delay_alu instid0(SALU_CYCLE_1) | instskip(NEXT) | instid1(SALU_CYCLE_1)
	s_add_co_i32 s2, s2, s20
	s_mul_i32 s2, s2, s22
	s_delay_alu instid0(SALU_CYCLE_1) | instskip(NEXT) | instid1(SALU_CYCLE_1)
	s_add_co_i32 s2, s0, s2
	v_add_nc_u32_e32 v1, s2, v0
	s_delay_alu instid0(VALU_DEP_1) | instskip(NEXT) | instid1(VALU_DEP_1)
	v_ashrrev_i32_e32 v2, 31, v1
	v_lshlrev_b64_e32 v[3:4], 2, v[1:2]
	s_and_saveexec_b32 s1, vcc_lo
	s_cbranch_execz .LBB0_2
; %bb.1:
	s_delay_alu instid0(VALU_DEP_1) | instskip(NEXT) | instid1(VALU_DEP_1)
	v_add_co_u32 v5, s0, s16, v3
	v_add_co_ci_u32_e64 v6, null, s17, v4, s0
	global_load_b32 v5, v[5:6], off
	v_mov_b32_e32 v6, 0
	s_wait_loadcnt 0x0
	ds_store_b32 v6, v5
.LBB0_2:
	s_or_b32 exec_lo, exec_lo, s1
	s_ashr_i32 s23, s22, 31
	v_add_co_u32 v1, s0, s22, v1
	s_wait_alu 0xf1ff
	v_add_co_ci_u32_e64 v2, null, s23, v2, s0
	s_lshl_b32 s20, s22, 1
	s_lshl_b64 s[14:15], s[22:23], 2
	s_ashr_i32 s21, s20, 31
	v_lshlrev_b64_e32 v[5:6], 2, v[1:2]
	s_mul_i32 s24, s22, 3
	s_lshl_b64 s[4:5], s[20:21], 2
	s_ashr_i32 s25, s24, 31
	s_mul_i32 s26, s22, 5
	s_mul_i32 s28, s22, 6
	v_add_co_u32 v5, s0, s18, v5
	s_wait_alu 0xf1ff
	v_add_co_ci_u32_e64 v6, null, s19, v6, s0
	s_lshl_b32 s18, s22, 2
	v_add_co_u32 v7, s0, v5, s14
	s_wait_alu 0xf1ff
	v_add_co_ci_u32_e64 v8, null, s15, v6, s0
	v_add_co_u32 v9, s0, v5, s4
	s_wait_alu 0xf1ff
	v_add_co_ci_u32_e64 v10, null, s5, v6, s0
	s_lshl_b64 s[0:1], s[24:25], 2
	s_wait_alu 0xfffe
	s_ashr_i32 s19, s18, 31
	v_add_co_u32 v11, s0, v5, s0
	s_wait_alu 0xf1ff
	v_add_co_ci_u32_e64 v12, null, s1, v6, s0
	s_wait_alu 0xfffe
	s_lshl_b64 s[0:1], s[18:19], 2
	s_ashr_i32 s27, s26, 31
	s_wait_alu 0xfffe
	v_add_co_u32 v13, s0, v5, s0
	s_wait_alu 0xf1ff
	v_add_co_ci_u32_e64 v14, null, s1, v6, s0
	s_lshl_b64 s[0:1], s[26:27], 2
	s_ashr_i32 s29, s28, 31
	s_wait_alu 0xfffe
	v_add_co_u32 v15, s0, v5, s0
	s_wait_alu 0xf1ff
	v_add_co_ci_u32_e64 v16, null, s1, v6, s0
	s_mul_i32 s30, s22, 7
	s_lshl_b64 s[0:1], s[28:29], 2
	s_ashr_i32 s31, s30, 31
	s_wait_alu 0xfffe
	v_add_co_u32 v17, s0, v5, s0
	s_wait_alu 0xf1ff
	v_add_co_ci_u32_e64 v18, null, s1, v6, s0
	s_lshl_b64 s[0:1], s[30:31], 2
	s_lshl_b32 s34, s22, 3
	s_wait_alu 0xfffe
	v_add_co_u32 v19, s0, v5, s0
	s_ashr_i32 s35, s34, 31
	s_wait_alu 0xf1ff
	v_add_co_ci_u32_e64 v20, null, s1, v6, s0
	s_mul_i32 s36, s22, 9
	s_lshl_b64 s[0:1], s[34:35], 2
	s_clause 0x7
	global_load_b32 v23, v[5:6], off offset:4
	global_load_b32 v24, v[7:8], off offset:4
	global_load_b32 v25, v[9:10], off offset:4
	global_load_b32 v26, v[11:12], off offset:4
	global_load_b32 v27, v[13:14], off offset:4
	global_load_b32 v28, v[15:16], off offset:4
	global_load_b32 v29, v[17:18], off offset:4
	global_load_b32 v30, v[19:20], off offset:4
	s_ashr_i32 s37, s36, 31
	s_wait_alu 0xfffe
	v_add_co_u32 v7, s0, v5, s0
	s_wait_alu 0xf1ff
	v_add_co_ci_u32_e64 v8, null, s1, v6, s0
	s_lshl_b64 s[0:1], s[36:37], 2
	s_mul_i32 s38, s22, 10
	s_wait_alu 0xfffe
	v_add_co_u32 v9, s0, v5, s0
	s_ashr_i32 s39, s38, 31
	s_wait_alu 0xf1ff
	v_add_co_ci_u32_e64 v10, null, s1, v6, s0
	s_mul_i32 s40, s22, 11
	s_lshl_b64 s[0:1], s[38:39], 2
	v_add_nc_u32_e32 v31, 1, v0
	s_ashr_i32 s41, s40, 31
	s_wait_alu 0xfffe
	v_add_co_u32 v11, s0, v5, s0
	s_wait_alu 0xf1ff
	v_add_co_ci_u32_e64 v12, null, s1, v6, s0
	s_lshl_b64 s[0:1], s[40:41], 2
	s_mul_i32 s42, s22, 12
	v_mad_co_u64_u32 v[17:18], null, s22, v31, s[2:3]
	s_wait_alu 0xfffe
	v_add_co_u32 v13, s0, v5, s0
	s_ashr_i32 s43, s42, 31
	s_wait_alu 0xf1ff
	v_add_co_ci_u32_e64 v14, null, s1, v6, s0
	s_mul_i32 s44, s22, 13
	s_lshl_b64 s[0:1], s[42:43], 2
	s_ashr_i32 s45, s44, 31
	s_wait_alu 0xfffe
	v_add_co_u32 v15, s0, v5, s0
	s_wait_alu 0xf1ff
	v_add_co_ci_u32_e64 v16, null, s1, v6, s0
	s_lshl_b64 s[0:1], s[44:45], 2
	s_mul_i32 s46, s22, 14
	v_ashrrev_i32_e32 v18, 31, v17
	s_wait_alu 0xfffe
	v_add_co_u32 v19, s0, v5, s0
	s_ashr_i32 s47, s46, 31
	s_wait_alu 0xf1ff
	v_add_co_ci_u32_e64 v20, null, s1, v6, s0
	s_mul_i32 s22, s22, 15
	s_lshl_b64 s[0:1], s[46:47], 2
	s_wait_alu 0xfffe
	s_ashr_i32 s23, s22, 31
	v_add_co_u32 v21, s0, v5, s0
	v_lshlrev_b64_e32 v[17:18], 2, v[17:18]
	s_wait_alu 0xf1ff
	v_add_co_ci_u32_e64 v22, null, s1, v6, s0
	s_wait_alu 0xfffe
	s_lshl_b64 s[0:1], s[22:23], 2
	s_wait_alu 0xfffe
	v_add_co_u32 v5, s0, v5, s0
	s_wait_alu 0xf1ff
	v_add_co_ci_u32_e64 v6, null, s1, v6, s0
	v_add_co_u32 v17, s0, s16, v17
	s_wait_alu 0xf1ff
	v_add_co_ci_u32_e64 v18, null, s17, v18, s0
	;; [unrolled: 3-line block ×3, first 2 shown]
	s_clause 0x7
	global_load_b32 v7, v[7:8], off offset:4
	global_load_b32 v8, v[9:10], off offset:4
	;; [unrolled: 1-line block ×8, first 2 shown]
	s_clause 0x1
	global_load_b32 v15, v[17:18], off
	global_load_b32 v16, v[3:4], off offset:4
	v_lshlrev_b32_e32 v5, 2, v0
	v_mul_u32_u24_e32 v19, 0x44, v31
	s_delay_alu instid0(VALU_DEP_2)
	v_add_nc_u32_e32 v17, 0x400, v5
	v_add_nc_u32_e32 v6, 0x490, v5
	;; [unrolled: 1-line block ×3, first 2 shown]
	s_wait_loadcnt 0x10
	ds_store_2addr_b32 v17, v23, v24 offset0:36 offset1:52
	s_wait_loadcnt 0xe
	ds_store_2addr_b32 v17, v25, v26 offset0:68 offset1:84
	;; [unrolled: 2-line block ×8, first 2 shown]
	s_wait_loadcnt 0x1
	ds_store_b32 v19, v15
	s_wait_loadcnt 0x0
	ds_store_b32 v5, v16 offset:4
	s_wait_dscnt 0x0
	s_barrier_signal -1
	s_barrier_wait -1
	global_inv scope:SCOPE_SE
	s_and_saveexec_b32 s0, vcc_lo
	s_cbranch_execz .LBB0_4
; %bb.3:
	ds_load_2addr_b32 v[7:8], v5 offset1:1
	ds_load_b32 v9, v5 offset:68
	ds_load_b32 v10, v6
	s_wait_dscnt 0x2
	v_subrev_nc_u32_e32 v8, s33, v8
	s_wait_dscnt 0x1
	v_subrev_nc_u32_e32 v9, s33, v9
	s_wait_dscnt 0x0
	v_add_nc_u32_e32 v7, v10, v7
	s_delay_alu instid0(VALU_DEP_1)
	v_max3_i32 v7, v7, v9, v8
	ds_store_b32 v5, v7 offset:72
.LBB0_4:
	s_wait_alu 0xfffe
	s_or_b32 exec_lo, exec_lo, s0
	v_cmp_gt_u32_e64 s0, 2, v0
	s_wait_loadcnt_dscnt 0x0
	s_barrier_signal -1
	s_barrier_wait -1
	global_inv scope:SCOPE_SE
	s_and_saveexec_b32 s1, s0
	s_cbranch_execz .LBB0_6
; %bb.5:
	v_sub_nc_u32_e32 v7, 1, v0
	s_delay_alu instid0(VALU_DEP_1) | instskip(SKIP_1) | instid1(VALU_DEP_2)
	v_mul_u32_u24_e32 v8, 17, v7
	v_lshl_add_u32 v7, v7, 6, v6
	v_lshl_add_u32 v9, v8, 2, v5
	ds_load_b32 v10, v7
	ds_load_2addr_b32 v[7:8], v9 offset1:1
	ds_load_b32 v11, v9 offset:68
	s_wait_dscnt 0x1
	v_add_nc_u32_e32 v7, v10, v7
	s_wait_dscnt 0x0
	v_subrev_nc_u32_e32 v10, s33, v11
	v_subrev_nc_u32_e32 v8, s33, v8
	s_delay_alu instid0(VALU_DEP_1)
	v_max3_i32 v7, v7, v10, v8
	ds_store_b32 v9, v7 offset:72
.LBB0_6:
	s_wait_alu 0xfffe
	s_or_b32 exec_lo, exec_lo, s1
	v_cmp_gt_u32_e64 s1, 3, v0
	s_wait_loadcnt_dscnt 0x0
	s_barrier_signal -1
	s_barrier_wait -1
	global_inv scope:SCOPE_SE
	s_and_saveexec_b32 s2, s1
	s_cbranch_execz .LBB0_8
; %bb.7:
	v_sub_nc_u32_e32 v7, 2, v0
	s_delay_alu instid0(VALU_DEP_1) | instskip(SKIP_1) | instid1(VALU_DEP_2)
	v_mul_u32_u24_e32 v8, 17, v7
	v_lshl_add_u32 v7, v7, 6, v6
	v_lshl_add_u32 v9, v8, 2, v5
	ds_load_b32 v10, v7
	ds_load_2addr_b32 v[7:8], v9 offset1:1
	ds_load_b32 v11, v9 offset:68
	s_wait_dscnt 0x1
	v_add_nc_u32_e32 v7, v10, v7
	s_wait_dscnt 0x0
	v_subrev_nc_u32_e32 v10, s33, v11
	v_subrev_nc_u32_e32 v8, s33, v8
	s_delay_alu instid0(VALU_DEP_1)
	v_max3_i32 v7, v7, v10, v8
	ds_store_b32 v9, v7 offset:72
.LBB0_8:
	;; [unrolled: 27-line block ×6, first 2 shown]
	s_or_b32 exec_lo, exec_lo, s6
	v_cmp_gt_u32_e64 s6, 8, v0
	s_wait_loadcnt_dscnt 0x0
	s_barrier_signal -1
	s_barrier_wait -1
	global_inv scope:SCOPE_SE
	s_and_saveexec_b32 s7, s6
	s_cbranch_execz .LBB0_18
; %bb.17:
	v_sub_nc_u32_e32 v7, 7, v0
	s_delay_alu instid0(VALU_DEP_1) | instskip(SKIP_1) | instid1(VALU_DEP_2)
	v_mul_u32_u24_e32 v8, 17, v7
	v_lshl_add_u32 v7, v7, 6, v6
	v_lshl_add_u32 v9, v8, 2, v5
	ds_load_b32 v10, v7
	ds_load_2addr_b32 v[7:8], v9 offset1:1
	ds_load_b32 v11, v9 offset:68
	s_wait_dscnt 0x1
	v_add_nc_u32_e32 v7, v10, v7
	s_wait_dscnt 0x0
	v_subrev_nc_u32_e32 v10, s33, v11
	v_subrev_nc_u32_e32 v8, s33, v8
	s_delay_alu instid0(VALU_DEP_1)
	v_max3_i32 v7, v7, v10, v8
	ds_store_b32 v9, v7 offset:72
.LBB0_18:
	s_or_b32 exec_lo, exec_lo, s7
	v_cmp_gt_u32_e64 s7, 9, v0
	s_wait_loadcnt_dscnt 0x0
	s_barrier_signal -1
	s_barrier_wait -1
	global_inv scope:SCOPE_SE
	s_and_saveexec_b32 s8, s7
	s_cbranch_execz .LBB0_20
; %bb.19:
	v_sub_nc_u32_e32 v7, 8, v0
	s_delay_alu instid0(VALU_DEP_1) | instskip(SKIP_1) | instid1(VALU_DEP_2)
	v_mul_u32_u24_e32 v8, 17, v7
	v_lshl_add_u32 v7, v7, 6, v6
	v_lshl_add_u32 v9, v8, 2, v5
	ds_load_b32 v10, v7
	ds_load_2addr_b32 v[7:8], v9 offset1:1
	ds_load_b32 v11, v9 offset:68
	s_wait_dscnt 0x1
	v_add_nc_u32_e32 v7, v10, v7
	s_wait_dscnt 0x0
	v_subrev_nc_u32_e32 v10, s33, v11
	v_subrev_nc_u32_e32 v8, s33, v8
	s_delay_alu instid0(VALU_DEP_1)
	v_max3_i32 v7, v7, v10, v8
	ds_store_b32 v9, v7 offset:72
.LBB0_20:
	s_or_b32 exec_lo, exec_lo, s8
	v_cmp_gt_u32_e64 s8, 10, v0
	s_wait_loadcnt_dscnt 0x0
	s_barrier_signal -1
	s_barrier_wait -1
	global_inv scope:SCOPE_SE
	s_and_saveexec_b32 s9, s8
	s_cbranch_execz .LBB0_22
; %bb.21:
	v_sub_nc_u32_e32 v7, 9, v0
	s_delay_alu instid0(VALU_DEP_1) | instskip(SKIP_1) | instid1(VALU_DEP_2)
	v_mul_u32_u24_e32 v8, 17, v7
	v_lshl_add_u32 v7, v7, 6, v6
	v_lshl_add_u32 v9, v8, 2, v5
	ds_load_b32 v10, v7
	ds_load_2addr_b32 v[7:8], v9 offset1:1
	ds_load_b32 v11, v9 offset:68
	s_wait_dscnt 0x1
	v_add_nc_u32_e32 v7, v10, v7
	s_wait_dscnt 0x0
	v_subrev_nc_u32_e32 v10, s33, v11
	v_subrev_nc_u32_e32 v8, s33, v8
	s_delay_alu instid0(VALU_DEP_1)
	v_max3_i32 v7, v7, v10, v8
	ds_store_b32 v9, v7 offset:72
.LBB0_22:
	s_or_b32 exec_lo, exec_lo, s9
	v_cmp_gt_u32_e64 s9, 11, v0
	s_wait_loadcnt_dscnt 0x0
	s_barrier_signal -1
	s_barrier_wait -1
	global_inv scope:SCOPE_SE
	s_and_saveexec_b32 s10, s9
	s_cbranch_execz .LBB0_24
; %bb.23:
	v_sub_nc_u32_e32 v7, 10, v0
	s_delay_alu instid0(VALU_DEP_1) | instskip(SKIP_1) | instid1(VALU_DEP_2)
	v_mul_u32_u24_e32 v8, 17, v7
	v_lshl_add_u32 v7, v7, 6, v6
	v_lshl_add_u32 v9, v8, 2, v5
	ds_load_b32 v10, v7
	ds_load_2addr_b32 v[7:8], v9 offset1:1
	ds_load_b32 v11, v9 offset:68
	s_wait_dscnt 0x1
	v_add_nc_u32_e32 v7, v10, v7
	s_wait_dscnt 0x0
	v_subrev_nc_u32_e32 v10, s33, v11
	v_subrev_nc_u32_e32 v8, s33, v8
	s_delay_alu instid0(VALU_DEP_1)
	v_max3_i32 v7, v7, v10, v8
	ds_store_b32 v9, v7 offset:72
.LBB0_24:
	s_or_b32 exec_lo, exec_lo, s10
	v_cmp_gt_u32_e64 s10, 12, v0
	s_wait_loadcnt_dscnt 0x0
	s_barrier_signal -1
	s_barrier_wait -1
	global_inv scope:SCOPE_SE
	s_and_saveexec_b32 s11, s10
	s_cbranch_execz .LBB0_26
; %bb.25:
	v_sub_nc_u32_e32 v7, 11, v0
	s_delay_alu instid0(VALU_DEP_1) | instskip(SKIP_1) | instid1(VALU_DEP_2)
	v_mul_u32_u24_e32 v8, 17, v7
	v_lshl_add_u32 v7, v7, 6, v6
	v_lshl_add_u32 v9, v8, 2, v5
	ds_load_b32 v10, v7
	ds_load_2addr_b32 v[7:8], v9 offset1:1
	ds_load_b32 v11, v9 offset:68
	s_wait_dscnt 0x1
	v_add_nc_u32_e32 v7, v10, v7
	s_wait_dscnt 0x0
	v_subrev_nc_u32_e32 v10, s33, v11
	v_subrev_nc_u32_e32 v8, s33, v8
	s_delay_alu instid0(VALU_DEP_1)
	v_max3_i32 v7, v7, v10, v8
	ds_store_b32 v9, v7 offset:72
.LBB0_26:
	s_or_b32 exec_lo, exec_lo, s11
	v_cmp_gt_u32_e64 s11, 13, v0
	s_wait_loadcnt_dscnt 0x0
	s_barrier_signal -1
	s_barrier_wait -1
	global_inv scope:SCOPE_SE
	s_and_saveexec_b32 s12, s11
	s_cbranch_execz .LBB0_28
; %bb.27:
	v_sub_nc_u32_e32 v7, 12, v0
	s_delay_alu instid0(VALU_DEP_1) | instskip(SKIP_1) | instid1(VALU_DEP_2)
	v_mul_u32_u24_e32 v8, 17, v7
	v_lshl_add_u32 v7, v7, 6, v6
	v_lshl_add_u32 v9, v8, 2, v5
	ds_load_b32 v10, v7
	ds_load_2addr_b32 v[7:8], v9 offset1:1
	ds_load_b32 v11, v9 offset:68
	s_wait_dscnt 0x1
	v_add_nc_u32_e32 v7, v10, v7
	s_wait_dscnt 0x0
	v_subrev_nc_u32_e32 v10, s33, v11
	v_subrev_nc_u32_e32 v8, s33, v8
	s_delay_alu instid0(VALU_DEP_1)
	v_max3_i32 v7, v7, v10, v8
	ds_store_b32 v9, v7 offset:72
.LBB0_28:
	s_or_b32 exec_lo, exec_lo, s12
	v_cmp_gt_u32_e64 s12, 14, v0
	s_wait_loadcnt_dscnt 0x0
	s_barrier_signal -1
	s_barrier_wait -1
	global_inv scope:SCOPE_SE
	s_and_saveexec_b32 s13, s12
	s_cbranch_execz .LBB0_30
; %bb.29:
	v_sub_nc_u32_e32 v7, 13, v0
	s_delay_alu instid0(VALU_DEP_1) | instskip(SKIP_1) | instid1(VALU_DEP_2)
	v_mul_u32_u24_e32 v8, 17, v7
	v_lshl_add_u32 v7, v7, 6, v6
	v_lshl_add_u32 v9, v8, 2, v5
	ds_load_b32 v10, v7
	ds_load_2addr_b32 v[7:8], v9 offset1:1
	ds_load_b32 v11, v9 offset:68
	s_wait_dscnt 0x1
	v_add_nc_u32_e32 v7, v10, v7
	s_wait_dscnt 0x0
	v_subrev_nc_u32_e32 v10, s33, v11
	v_subrev_nc_u32_e32 v8, s33, v8
	s_delay_alu instid0(VALU_DEP_1)
	v_max3_i32 v7, v7, v10, v8
	ds_store_b32 v9, v7 offset:72
.LBB0_30:
	s_or_b32 exec_lo, exec_lo, s13
	v_cmp_gt_u32_e64 s13, 15, v0
	s_wait_loadcnt_dscnt 0x0
	s_barrier_signal -1
	s_barrier_wait -1
	global_inv scope:SCOPE_SE
	s_and_saveexec_b32 s48, s13
	s_cbranch_execz .LBB0_32
; %bb.31:
	v_sub_nc_u32_e32 v7, 14, v0
	s_delay_alu instid0(VALU_DEP_1) | instskip(SKIP_1) | instid1(VALU_DEP_2)
	v_mul_u32_u24_e32 v8, 17, v7
	v_lshl_add_u32 v7, v7, 6, v6
	v_lshl_add_u32 v9, v8, 2, v5
	ds_load_b32 v10, v7
	ds_load_2addr_b32 v[7:8], v9 offset1:1
	ds_load_b32 v11, v9 offset:68
	s_wait_dscnt 0x1
	v_add_nc_u32_e32 v7, v10, v7
	s_wait_dscnt 0x0
	v_subrev_nc_u32_e32 v10, s33, v11
	v_subrev_nc_u32_e32 v8, s33, v8
	s_delay_alu instid0(VALU_DEP_1)
	v_max3_i32 v7, v7, v10, v8
	ds_store_b32 v9, v7 offset:72
.LBB0_32:
	s_or_b32 exec_lo, exec_lo, s48
	v_sub_co_u32 v9, s48, 15, v0
	s_xor_b32 s48, s48, -1
	s_wait_loadcnt_dscnt 0x0
	s_barrier_signal -1
	v_mul_i32_i24_e32 v7, 17, v9
	v_lshlrev_b32_e32 v8, 6, v9
	s_barrier_wait -1
	global_inv scope:SCOPE_SE
	s_and_saveexec_b32 s49, s48
	s_delay_alu instid0(SALU_CYCLE_1)
	s_xor_b32 s48, exec_lo, s49
	s_cbranch_execz .LBB0_34
; %bb.33:
	v_lshlrev_b32_e32 v8, 6, v9
	v_lshl_add_u32 v11, v7, 2, v5
	s_delay_alu instid0(VALU_DEP_2)
	v_add_nc_u32_e32 v6, v6, v8
	ds_load_2addr_b32 v[9:10], v11 offset1:1
	ds_load_b32 v6, v6
	ds_load_b32 v12, v11 offset:68
	s_wait_dscnt 0x2
	v_subrev_nc_u32_e32 v10, s33, v10
	s_wait_dscnt 0x1
	v_add_nc_u32_e32 v6, v6, v9
	s_wait_dscnt 0x0
	v_subrev_nc_u32_e32 v9, s33, v12
	s_delay_alu instid0(VALU_DEP_1)
	v_max3_i32 v6, v6, v9, v10
	ds_store_b32 v11, v6 offset:72
.LBB0_34:
	s_and_not1_saveexec_b32 s48, s48
	s_delay_alu instid0(SALU_CYCLE_1)
	s_or_b32 exec_lo, exec_lo, s48
	v_sub_nc_u32_e32 v0, 16, v0
	v_lshlrev_b32_e32 v6, 2, v7
	v_add_nc_u32_e32 v7, 0x490, v8
	s_wait_loadcnt_dscnt 0x0
	s_barrier_signal -1
	v_mul_i32_i24_e32 v0, 0x44, v0
	s_barrier_wait -1
	global_inv scope:SCOPE_SE
	s_and_saveexec_b32 s48, s13
	s_cbranch_execz .LBB0_36
; %bb.35:
	v_add_nc_u32_e32 v8, v6, v5
	v_add_nc_u32_e32 v10, v7, v5
	v_add_nc_u32_e32 v11, v0, v5
	ds_load_2addr_b32 v[8:9], v8 offset0:1 offset1:2
	ds_load_b32 v10, v10 offset:4
	ds_load_b32 v12, v11 offset:4
	s_wait_dscnt 0x2
	v_subrev_nc_u32_e32 v9, s33, v9
	s_wait_dscnt 0x1
	v_add_nc_u32_e32 v8, v10, v8
	s_wait_dscnt 0x0
	v_subrev_nc_u32_e32 v10, s33, v12
	s_delay_alu instid0(VALU_DEP_1)
	v_max3_i32 v8, v8, v10, v9
	ds_store_b32 v11, v8 offset:8
.LBB0_36:
	s_or_b32 exec_lo, exec_lo, s48
	s_wait_loadcnt_dscnt 0x0
	s_barrier_signal -1
	s_barrier_wait -1
	global_inv scope:SCOPE_SE
	s_and_saveexec_b32 s13, s12
	s_cbranch_execz .LBB0_38
; %bb.37:
	v_add_nc_u32_e32 v8, v6, v5
	v_add_nc_u32_e32 v10, v7, v5
	v_add_nc_u32_e32 v11, v0, v5
	ds_load_2addr_b32 v[8:9], v8 offset0:2 offset1:3
	ds_load_b32 v10, v10 offset:8
	ds_load_b32 v12, v11 offset:8
	s_wait_dscnt 0x2
	v_subrev_nc_u32_e32 v9, s33, v9
	s_wait_dscnt 0x1
	v_add_nc_u32_e32 v8, v10, v8
	s_wait_dscnt 0x0
	v_subrev_nc_u32_e32 v10, s33, v12
	s_delay_alu instid0(VALU_DEP_1)
	v_max3_i32 v8, v8, v10, v9
	ds_store_b32 v11, v8 offset:12
.LBB0_38:
	s_or_b32 exec_lo, exec_lo, s13
	s_wait_loadcnt_dscnt 0x0
	s_barrier_signal -1
	;; [unrolled: 24-line block ×9, first 2 shown]
	s_barrier_wait -1
	global_inv scope:SCOPE_SE
	s_and_saveexec_b32 s5, s4
	s_cbranch_execz .LBB0_54
; %bb.53:
	v_add_nc_u32_e32 v8, v6, v5
	v_add_nc_u32_e32 v10, v7, v5
	v_add_nc_u32_e32 v11, v0, v5
	ds_load_2addr_b32 v[8:9], v8 offset0:10 offset1:11
	ds_load_b32 v10, v10 offset:40
	ds_load_b32 v12, v11 offset:40
	s_wait_dscnt 0x2
	v_subrev_nc_u32_e32 v9, s33, v9
	s_wait_dscnt 0x1
	v_add_nc_u32_e32 v8, v10, v8
	s_wait_dscnt 0x0
	v_subrev_nc_u32_e32 v10, s33, v12
	s_delay_alu instid0(VALU_DEP_1)
	v_max3_i32 v8, v8, v10, v9
	ds_store_b32 v11, v8 offset:44
.LBB0_54:
	s_wait_alu 0xfffe
	s_or_b32 exec_lo, exec_lo, s5
	s_wait_loadcnt_dscnt 0x0
	s_barrier_signal -1
	s_barrier_wait -1
	global_inv scope:SCOPE_SE
	s_and_saveexec_b32 s4, s3
	s_cbranch_execz .LBB0_56
; %bb.55:
	v_add_nc_u32_e32 v8, v6, v5
	v_add_nc_u32_e32 v10, v7, v5
	v_add_nc_u32_e32 v11, v0, v5
	ds_load_2addr_b32 v[8:9], v8 offset0:11 offset1:12
	ds_load_b32 v10, v10 offset:44
	ds_load_b32 v12, v11 offset:44
	s_wait_dscnt 0x2
	v_subrev_nc_u32_e32 v9, s33, v9
	s_wait_dscnt 0x1
	v_add_nc_u32_e32 v8, v10, v8
	s_wait_dscnt 0x0
	v_subrev_nc_u32_e32 v10, s33, v12
	s_delay_alu instid0(VALU_DEP_1)
	v_max3_i32 v8, v8, v10, v9
	ds_store_b32 v11, v8 offset:48
.LBB0_56:
	s_wait_alu 0xfffe
	s_or_b32 exec_lo, exec_lo, s4
	s_wait_loadcnt_dscnt 0x0
	s_barrier_signal -1
	;; [unrolled: 25-line block ×5, first 2 shown]
	s_barrier_wait -1
	global_inv scope:SCOPE_SE
	s_and_saveexec_b32 s0, vcc_lo
	s_cbranch_execz .LBB0_64
; %bb.63:
	ds_load_2addr_b32 v[8:9], v6 offset0:15 offset1:16
	ds_load_b32 v6, v7 offset:60
	ds_load_b32 v7, v0 offset:60
	s_wait_dscnt 0x1
	v_add_nc_u32_e32 v6, v6, v8
	s_wait_dscnt 0x0
	v_subrev_nc_u32_e32 v7, s33, v7
	v_subrev_nc_u32_e32 v8, s33, v9
	s_delay_alu instid0(VALU_DEP_1)
	v_max3_i32 v6, v6, v7, v8
	ds_store_b32 v0, v6 offset:64
.LBB0_64:
	s_wait_alu 0xfffe
	s_or_b32 exec_lo, exec_lo, s0
	v_add_co_u32 v6, vcc_lo, s20, v1
	s_delay_alu instid0(VALU_DEP_1)
	v_add_co_ci_u32_e64 v7, null, s21, v2, vcc_lo
	v_add_co_u32 v8, vcc_lo, s24, v1
	s_wait_alu 0xfffd
	v_add_co_ci_u32_e64 v9, null, s25, v2, vcc_lo
	v_add_co_u32 v10, vcc_lo, s18, v1
	s_wait_alu 0xfffd
	;; [unrolled: 3-line block ×8, first 2 shown]
	v_add_co_ci_u32_e64 v23, null, s39, v2, vcc_lo
	v_add_co_u32 v24, vcc_lo, s40, v1
	s_wait_loadcnt_dscnt 0x0
	s_barrier_signal -1
	s_barrier_wait -1
	global_inv scope:SCOPE_SE
	ds_load_2addr_b32 v[30:31], v5 offset0:18 offset1:35
	s_wait_alu 0xfffd
	v_add_co_ci_u32_e64 v25, null, s41, v2, vcc_lo
	v_add_co_u32 v26, vcc_lo, s42, v1
	ds_load_2addr_b32 v[34:35], v5 offset0:52 offset1:69
	s_wait_alu 0xfffd
	v_add_co_ci_u32_e64 v27, null, s43, v2, vcc_lo
	v_add_co_u32 v28, vcc_lo, s44, v1
	s_wait_alu 0xfffd
	v_add_co_ci_u32_e64 v29, null, s45, v2, vcc_lo
	v_add_co_u32 v32, vcc_lo, s46, v1
	;; [unrolled: 3-line block ×3, first 2 shown]
	v_lshlrev_b64_e32 v[6:7], 2, v[6:7]
	s_wait_alu 0xfffd
	v_add_co_ci_u32_e64 v4, null, s15, v4, vcc_lo
	s_delay_alu instid0(VALU_DEP_3) | instskip(SKIP_2) | instid1(VALU_DEP_3)
	v_add_co_u32 v36, vcc_lo, v3, s14
	v_lshlrev_b64_e32 v[12:13], 2, v[12:13]
	s_wait_alu 0xfffd
	v_add_co_ci_u32_e64 v37, null, s15, v4, vcc_lo
	v_add_co_u32 v6, vcc_lo, s16, v6
	s_wait_alu 0xfffd
	v_add_co_ci_u32_e64 v7, null, s17, v7, vcc_lo
	s_wait_dscnt 0x1
	s_clause 0x1
	global_store_b32 v[3:4], v30, off offset:4
	global_store_b32 v[36:37], v31, off offset:4
	v_add_co_u32 v0, vcc_lo, s22, v1
	s_wait_dscnt 0x0
	global_store_b32 v[6:7], v34, off offset:4
	ds_load_2addr_b32 v[6:7], v5 offset0:86 offset1:103
	s_wait_alu 0xfffd
	v_add_co_ci_u32_e64 v1, null, s23, v2, vcc_lo
	v_lshlrev_b64_e32 v[2:3], 2, v[8:9]
	v_lshlrev_b64_e32 v[8:9], 2, v[10:11]
	ds_load_2addr_b32 v[10:11], v5 offset0:120 offset1:137
	v_lshlrev_b64_e32 v[14:15], 2, v[14:15]
	v_lshlrev_b64_e32 v[0:1], 2, v[0:1]
	v_add_co_u32 v2, vcc_lo, s16, v2
	s_wait_alu 0xfffd
	v_add_co_ci_u32_e64 v3, null, s17, v3, vcc_lo
	v_add_co_u32 v8, vcc_lo, s16, v8
	s_wait_alu 0xfffd
	v_add_co_ci_u32_e64 v9, null, s17, v9, vcc_lo
	;; [unrolled: 3-line block ×3, first 2 shown]
	v_add_co_u32 v14, vcc_lo, s16, v14
	global_store_b32 v[2:3], v35, off offset:4
	s_wait_dscnt 0x1
	s_clause 0x1
	global_store_b32 v[8:9], v6, off offset:4
	global_store_b32 v[12:13], v7, off offset:4
	ds_load_2addr_b32 v[6:7], v5 offset0:154 offset1:171
	s_wait_alu 0xfffd
	v_add_co_ci_u32_e64 v15, null, s17, v15, vcc_lo
	ds_load_2addr_b32 v[12:13], v5 offset0:188 offset1:205
	v_lshlrev_b64_e32 v[2:3], 2, v[16:17]
	v_lshlrev_b64_e32 v[8:9], 2, v[18:19]
	s_wait_dscnt 0x2
	global_store_b32 v[14:15], v10, off offset:4
	v_lshlrev_b64_e32 v[14:15], 2, v[20:21]
	v_lshlrev_b64_e32 v[16:17], 2, v[22:23]
	v_add_nc_u32_e32 v10, 0x400, v5
	v_add_co_u32 v2, vcc_lo, s16, v2
	s_wait_alu 0xfffd
	v_add_co_ci_u32_e64 v3, null, s17, v3, vcc_lo
	v_add_co_u32 v8, vcc_lo, s16, v8
	s_wait_alu 0xfffd
	v_add_co_ci_u32_e64 v9, null, s17, v9, vcc_lo
	;; [unrolled: 3-line block ×4, first 2 shown]
	global_store_b32 v[2:3], v11, off offset:4
	s_wait_dscnt 0x1
	s_clause 0x1
	global_store_b32 v[8:9], v6, off offset:4
	global_store_b32 v[14:15], v7, off offset:4
	s_wait_dscnt 0x0
	global_store_b32 v[16:17], v12, off offset:4
	ds_load_2addr_b32 v[4:5], v5 offset0:222 offset1:239
	v_lshlrev_b64_e32 v[2:3], 2, v[24:25]
	ds_load_2addr_b32 v[10:11], v10 offset1:17
	v_lshlrev_b64_e32 v[6:7], 2, v[26:27]
	v_lshlrev_b64_e32 v[8:9], 2, v[28:29]
	;; [unrolled: 1-line block ×3, first 2 shown]
	v_add_co_u32 v2, vcc_lo, s16, v2
	s_wait_alu 0xfffd
	v_add_co_ci_u32_e64 v3, null, s17, v3, vcc_lo
	v_add_co_u32 v6, vcc_lo, s16, v6
	s_wait_alu 0xfffd
	v_add_co_ci_u32_e64 v7, null, s17, v7, vcc_lo
	;; [unrolled: 3-line block ×5, first 2 shown]
	global_store_b32 v[2:3], v13, off offset:4
	s_wait_dscnt 0x1
	s_clause 0x1
	global_store_b32 v[6:7], v4, off offset:4
	global_store_b32 v[8:9], v5, off offset:4
	s_wait_dscnt 0x0
	s_clause 0x1
	global_store_b32 v[14:15], v10, off offset:4
	global_store_b32 v[0:1], v11, off offset:4
	s_endpgm
	.section	.rodata,"a",@progbits
	.p2align	6, 0x0
	.amdhsa_kernel _Z7kernel1PiPKiiiiii
		.amdhsa_group_segment_fixed_size 2192
		.amdhsa_private_segment_fixed_size 0
		.amdhsa_kernarg_size 36
		.amdhsa_user_sgpr_count 2
		.amdhsa_user_sgpr_dispatch_ptr 0
		.amdhsa_user_sgpr_queue_ptr 0
		.amdhsa_user_sgpr_kernarg_segment_ptr 1
		.amdhsa_user_sgpr_dispatch_id 0
		.amdhsa_user_sgpr_private_segment_size 0
		.amdhsa_wavefront_size32 1
		.amdhsa_uses_dynamic_stack 0
		.amdhsa_enable_private_segment 0
		.amdhsa_system_sgpr_workgroup_id_x 1
		.amdhsa_system_sgpr_workgroup_id_y 0
		.amdhsa_system_sgpr_workgroup_id_z 0
		.amdhsa_system_sgpr_workgroup_info 0
		.amdhsa_system_vgpr_workitem_id 0
		.amdhsa_next_free_vgpr 38
		.amdhsa_next_free_sgpr 50
		.amdhsa_reserve_vcc 1
		.amdhsa_float_round_mode_32 0
		.amdhsa_float_round_mode_16_64 0
		.amdhsa_float_denorm_mode_32 3
		.amdhsa_float_denorm_mode_16_64 3
		.amdhsa_fp16_overflow 0
		.amdhsa_workgroup_processor_mode 1
		.amdhsa_memory_ordered 1
		.amdhsa_forward_progress 1
		.amdhsa_inst_pref_size 48
		.amdhsa_round_robin_scheduling 0
		.amdhsa_exception_fp_ieee_invalid_op 0
		.amdhsa_exception_fp_denorm_src 0
		.amdhsa_exception_fp_ieee_div_zero 0
		.amdhsa_exception_fp_ieee_overflow 0
		.amdhsa_exception_fp_ieee_underflow 0
		.amdhsa_exception_fp_ieee_inexact 0
		.amdhsa_exception_int_div_zero 0
	.end_amdhsa_kernel
	.text
.Lfunc_end0:
	.size	_Z7kernel1PiPKiiiiii, .Lfunc_end0-_Z7kernel1PiPKiiiiii
                                        ; -- End function
	.set _Z7kernel1PiPKiiiiii.num_vgpr, 38
	.set _Z7kernel1PiPKiiiiii.num_agpr, 0
	.set _Z7kernel1PiPKiiiiii.numbered_sgpr, 50
	.set _Z7kernel1PiPKiiiiii.num_named_barrier, 0
	.set _Z7kernel1PiPKiiiiii.private_seg_size, 0
	.set _Z7kernel1PiPKiiiiii.uses_vcc, 1
	.set _Z7kernel1PiPKiiiiii.uses_flat_scratch, 0
	.set _Z7kernel1PiPKiiiiii.has_dyn_sized_stack, 0
	.set _Z7kernel1PiPKiiiiii.has_recursion, 0
	.set _Z7kernel1PiPKiiiiii.has_indirect_call, 0
	.section	.AMDGPU.csdata,"",@progbits
; Kernel info:
; codeLenInByte = 6136
; TotalNumSgprs: 52
; NumVgprs: 38
; ScratchSize: 0
; MemoryBound: 0
; FloatMode: 240
; IeeeMode: 1
; LDSByteSize: 2192 bytes/workgroup (compile time only)
; SGPRBlocks: 0
; VGPRBlocks: 4
; NumSGPRsForWavesPerEU: 52
; NumVGPRsForWavesPerEU: 38
; Occupancy: 16
; WaveLimiterHint : 0
; COMPUTE_PGM_RSRC2:SCRATCH_EN: 0
; COMPUTE_PGM_RSRC2:USER_SGPR: 2
; COMPUTE_PGM_RSRC2:TRAP_HANDLER: 0
; COMPUTE_PGM_RSRC2:TGID_X_EN: 1
; COMPUTE_PGM_RSRC2:TGID_Y_EN: 0
; COMPUTE_PGM_RSRC2:TGID_Z_EN: 0
; COMPUTE_PGM_RSRC2:TIDIG_COMP_CNT: 0
	.text
	.protected	_Z7kernel2PiPKiiiiiii   ; -- Begin function _Z7kernel2PiPKiiiiiii
	.globl	_Z7kernel2PiPKiiiiiii
	.p2align	8
	.type	_Z7kernel2PiPKiiiiiii,@function
_Z7kernel2PiPKiiiiiii:                  ; @_Z7kernel2PiPKiiiiiii
; %bb.0:
	s_clause 0x1
	s_load_b256 s[16:23], s[0:1], 0x0
	s_load_b64 s[24:25], s[0:1], 0x20
	s_not_b32 s0, ttmp9
	v_cmp_eq_u32_e32 vcc_lo, 0, v0
	s_wait_kmcnt 0x0
	s_add_co_i32 s0, s20, s0
	s_add_co_i32 s1, s20, ttmp9
	s_lshl_b32 s0, s0, 4
	s_sub_co_i32 s1, s1, s24
	s_add_co_i32 s0, s0, s21
	s_lshl_b32 s1, s1, 4
	s_mul_i32 s0, s0, s23
	s_add_co_i32 s1, s1, s22
	s_delay_alu instid0(SALU_CYCLE_1)
	s_add_co_i32 s2, s1, s0
	s_and_saveexec_b32 s0, vcc_lo
	s_cbranch_execz .LBB1_2
; %bb.1:
	s_ashr_i32 s3, s2, 31
	s_delay_alu instid0(SALU_CYCLE_1) | instskip(NEXT) | instid1(SALU_CYCLE_1)
	s_lshl_b64 s[4:5], s[2:3], 2
	s_add_nc_u64 s[4:5], s[16:17], s[4:5]
	s_load_b32 s1, s[4:5], 0x0
	s_wait_kmcnt 0x0
	v_dual_mov_b32 v1, 0 :: v_dual_mov_b32 v2, s1
	ds_store_b32 v1, v2
.LBB1_2:
	s_or_b32 exec_lo, exec_lo, s0
	v_add_nc_u32_e32 v3, s2, v0
	s_ashr_i32 s1, s23, 31
	s_lshl_b32 s20, s23, 1
	s_mul_i32 s26, s23, 3
	s_ashr_i32 s21, s20, 31
	v_ashrrev_i32_e32 v4, 31, v3
	v_add_co_u32 v1, s0, s23, v3
	s_lshl_b64 s[4:5], s[20:21], 2
	s_ashr_i32 s27, s26, 31
	s_wait_alu 0xf1fe
	v_add_co_ci_u32_e64 v2, null, s1, v4, s0
	s_mov_b32 s0, s23
	s_mul_i32 s28, s23, 5
	s_wait_alu 0xfffe
	s_lshl_b64 s[14:15], s[0:1], 2
	v_lshlrev_b64_e32 v[5:6], 2, v[1:2]
	s_ashr_i32 s29, s28, 31
	s_mul_i32 s30, s23, 6
	s_mul_i32 s34, s23, 7
	s_ashr_i32 s31, s30, 31
	s_ashr_i32 s35, s34, 31
	v_add_co_u32 v5, s0, s18, v5
	s_wait_alu 0xf1ff
	v_add_co_ci_u32_e64 v6, null, s19, v6, s0
	s_lshl_b32 s18, s23, 2
	v_add_co_u32 v7, s0, v5, s14
	s_wait_alu 0xf1ff
	v_add_co_ci_u32_e64 v8, null, s15, v6, s0
	v_add_co_u32 v9, s0, v5, s4
	s_wait_alu 0xf1ff
	v_add_co_ci_u32_e64 v10, null, s5, v6, s0
	s_lshl_b64 s[0:1], s[26:27], 2
	s_wait_alu 0xfffe
	s_ashr_i32 s19, s18, 31
	v_add_co_u32 v11, s0, v5, s0
	s_wait_alu 0xf1ff
	v_add_co_ci_u32_e64 v12, null, s1, v6, s0
	s_wait_alu 0xfffe
	s_lshl_b64 s[0:1], s[18:19], 2
	s_lshl_b32 s36, s23, 3
	s_wait_alu 0xfffe
	v_add_co_u32 v13, s0, v5, s0
	s_wait_alu 0xf1ff
	v_add_co_ci_u32_e64 v14, null, s1, v6, s0
	s_lshl_b64 s[0:1], s[28:29], 2
	s_ashr_i32 s37, s36, 31
	s_wait_alu 0xfffe
	v_add_co_u32 v15, s0, v5, s0
	s_wait_alu 0xf1ff
	v_add_co_ci_u32_e64 v16, null, s1, v6, s0
	s_lshl_b64 s[0:1], s[30:31], 2
	s_mul_i32 s38, s23, 9
	s_wait_alu 0xfffe
	v_add_co_u32 v17, s0, v5, s0
	s_wait_alu 0xf1ff
	v_add_co_ci_u32_e64 v18, null, s1, v6, s0
	s_lshl_b64 s[0:1], s[34:35], 2
	s_ashr_i32 s39, s38, 31
	s_wait_alu 0xfffe
	v_add_co_u32 v19, s0, v5, s0
	s_wait_alu 0xf1ff
	v_add_co_ci_u32_e64 v20, null, s1, v6, s0
	s_lshl_b64 s[0:1], s[36:37], 2
	s_clause 0x7
	global_load_b32 v23, v[5:6], off offset:4
	global_load_b32 v24, v[7:8], off offset:4
	;; [unrolled: 1-line block ×8, first 2 shown]
	s_wait_alu 0xfffe
	v_add_co_u32 v7, s0, v5, s0
	s_wait_alu 0xf1ff
	v_add_co_ci_u32_e64 v8, null, s1, v6, s0
	s_lshl_b64 s[0:1], s[38:39], 2
	s_mul_i32 s40, s23, 10
	v_add_nc_u32_e32 v31, 1, v0
	s_wait_alu 0xfffe
	v_add_co_u32 v9, s0, v5, s0
	s_ashr_i32 s41, s40, 31
	s_wait_alu 0xf1ff
	v_add_co_ci_u32_e64 v10, null, s1, v6, s0
	s_mul_i32 s42, s23, 11
	s_lshl_b64 s[0:1], s[40:41], 2
	v_mad_co_u64_u32 v[15:16], null, s23, v31, s[2:3]
	s_ashr_i32 s43, s42, 31
	s_wait_alu 0xfffe
	v_add_co_u32 v11, s0, v5, s0
	s_wait_alu 0xf1ff
	v_add_co_ci_u32_e64 v12, null, s1, v6, s0
	s_lshl_b64 s[0:1], s[42:43], 2
	s_mul_i32 s44, s23, 12
	s_wait_alu 0xfffe
	v_add_co_u32 v13, s0, v5, s0
	s_ashr_i32 s45, s44, 31
	s_wait_alu 0xf1ff
	v_add_co_ci_u32_e64 v14, null, s1, v6, s0
	s_mul_i32 s48, s23, 13
	s_lshl_b64 s[0:1], s[44:45], 2
	v_ashrrev_i32_e32 v16, 31, v15
	s_ashr_i32 s49, s48, 31
	s_wait_alu 0xfffe
	v_add_co_u32 v17, s0, v5, s0
	s_wait_alu 0xf1ff
	v_add_co_ci_u32_e64 v18, null, s1, v6, s0
	s_lshl_b64 s[0:1], s[48:49], 2
	s_mul_i32 s46, s23, 14
	s_wait_alu 0xfffe
	v_add_co_u32 v19, s0, v5, s0
	s_ashr_i32 s47, s46, 31
	v_lshlrev_b64_e32 v[15:16], 2, v[15:16]
	s_wait_alu 0xf1ff
	v_add_co_ci_u32_e64 v20, null, s1, v6, s0
	s_lshl_b64 s[0:1], s[46:47], 2
	v_lshlrev_b64_e32 v[3:4], 2, v[3:4]
	s_wait_alu 0xfffe
	v_add_co_u32 v21, s0, v5, s0
	s_mul_i32 s22, s23, 15
	v_add_co_ci_u32_e64 v22, null, s1, v6, s0
	v_add_co_u32 v15, s0, s16, v15
	s_wait_alu 0xfffe
	s_ashr_i32 s23, s22, 31
	v_add_co_ci_u32_e64 v16, null, s17, v16, s0
	v_add_co_u32 v3, s0, s16, v3
	s_wait_alu 0xfffe
	s_lshl_b64 s[2:3], s[22:23], 2
	v_add_co_ci_u32_e64 v4, null, s17, v4, s0
	s_wait_alu 0xfffe
	v_add_co_u32 v5, s0, v5, s2
	s_wait_alu 0xf1ff
	v_add_co_ci_u32_e64 v6, null, s3, v6, s0
	s_clause 0x1
	global_load_b32 v15, v[15:16], off
	global_load_b32 v16, v[3:4], off offset:4
	s_clause 0x7
	global_load_b32 v7, v[7:8], off offset:4
	global_load_b32 v8, v[9:10], off offset:4
	;; [unrolled: 1-line block ×8, first 2 shown]
	v_lshlrev_b32_e32 v5, 2, v0
	v_mul_u32_u24_e32 v17, 0x44, v31
	s_delay_alu instid0(VALU_DEP_2)
	v_add_nc_u32_e32 v6, 0x490, v5
	v_add_nc_u32_e32 v18, 0x400, v5
	;; [unrolled: 1-line block ×3, first 2 shown]
	s_wait_loadcnt 0x9
	ds_store_b32 v17, v15
	s_wait_loadcnt 0x8
	ds_store_b32 v5, v16 offset:4
	ds_store_2addr_b32 v18, v23, v24 offset0:36 offset1:52
	ds_store_2addr_b32 v18, v25, v26 offset0:68 offset1:84
	;; [unrolled: 1-line block ×4, first 2 shown]
	s_wait_loadcnt 0x6
	ds_store_2addr_b32 v18, v7, v8 offset0:164 offset1:180
	s_wait_loadcnt 0x4
	ds_store_2addr_b32 v18, v9, v10 offset0:196 offset1:212
	;; [unrolled: 2-line block ×4, first 2 shown]
	s_wait_dscnt 0x0
	s_barrier_signal -1
	s_barrier_wait -1
	global_inv scope:SCOPE_SE
	s_and_saveexec_b32 s0, vcc_lo
	s_cbranch_execz .LBB1_4
; %bb.3:
	ds_load_2addr_b32 v[7:8], v5 offset1:1
	ds_load_b32 v9, v5 offset:68
	ds_load_b32 v10, v6
	s_wait_dscnt 0x2
	v_subrev_nc_u32_e32 v8, s25, v8
	s_wait_dscnt 0x1
	v_subrev_nc_u32_e32 v9, s25, v9
	s_wait_dscnt 0x0
	v_add_nc_u32_e32 v7, v10, v7
	s_delay_alu instid0(VALU_DEP_1)
	v_max3_i32 v7, v7, v9, v8
	ds_store_b32 v5, v7 offset:72
.LBB1_4:
	s_wait_alu 0xfffe
	s_or_b32 exec_lo, exec_lo, s0
	v_cmp_gt_u32_e64 s0, 2, v0
	s_wait_loadcnt_dscnt 0x0
	s_barrier_signal -1
	s_barrier_wait -1
	global_inv scope:SCOPE_SE
	s_and_saveexec_b32 s1, s0
	s_cbranch_execz .LBB1_6
; %bb.5:
	v_sub_nc_u32_e32 v7, 1, v0
	s_delay_alu instid0(VALU_DEP_1) | instskip(SKIP_1) | instid1(VALU_DEP_2)
	v_mul_u32_u24_e32 v8, 17, v7
	v_lshl_add_u32 v7, v7, 6, v6
	v_lshl_add_u32 v9, v8, 2, v5
	ds_load_b32 v10, v7
	ds_load_2addr_b32 v[7:8], v9 offset1:1
	ds_load_b32 v11, v9 offset:68
	s_wait_dscnt 0x1
	v_add_nc_u32_e32 v7, v10, v7
	s_wait_dscnt 0x0
	v_subrev_nc_u32_e32 v10, s25, v11
	v_subrev_nc_u32_e32 v8, s25, v8
	s_delay_alu instid0(VALU_DEP_1)
	v_max3_i32 v7, v7, v10, v8
	ds_store_b32 v9, v7 offset:72
.LBB1_6:
	s_wait_alu 0xfffe
	s_or_b32 exec_lo, exec_lo, s1
	v_cmp_gt_u32_e64 s1, 3, v0
	s_wait_loadcnt_dscnt 0x0
	s_barrier_signal -1
	s_barrier_wait -1
	global_inv scope:SCOPE_SE
	s_and_saveexec_b32 s2, s1
	s_cbranch_execz .LBB1_8
; %bb.7:
	v_sub_nc_u32_e32 v7, 2, v0
	s_delay_alu instid0(VALU_DEP_1) | instskip(SKIP_1) | instid1(VALU_DEP_2)
	v_mul_u32_u24_e32 v8, 17, v7
	v_lshl_add_u32 v7, v7, 6, v6
	v_lshl_add_u32 v9, v8, 2, v5
	ds_load_b32 v10, v7
	ds_load_2addr_b32 v[7:8], v9 offset1:1
	ds_load_b32 v11, v9 offset:68
	s_wait_dscnt 0x1
	v_add_nc_u32_e32 v7, v10, v7
	s_wait_dscnt 0x0
	v_subrev_nc_u32_e32 v10, s25, v11
	v_subrev_nc_u32_e32 v8, s25, v8
	s_delay_alu instid0(VALU_DEP_1)
	v_max3_i32 v7, v7, v10, v8
	ds_store_b32 v9, v7 offset:72
.LBB1_8:
	;; [unrolled: 27-line block ×6, first 2 shown]
	s_or_b32 exec_lo, exec_lo, s6
	v_cmp_gt_u32_e64 s6, 8, v0
	s_wait_loadcnt_dscnt 0x0
	s_barrier_signal -1
	s_barrier_wait -1
	global_inv scope:SCOPE_SE
	s_and_saveexec_b32 s7, s6
	s_cbranch_execz .LBB1_18
; %bb.17:
	v_sub_nc_u32_e32 v7, 7, v0
	s_delay_alu instid0(VALU_DEP_1) | instskip(SKIP_1) | instid1(VALU_DEP_2)
	v_mul_u32_u24_e32 v8, 17, v7
	v_lshl_add_u32 v7, v7, 6, v6
	v_lshl_add_u32 v9, v8, 2, v5
	ds_load_b32 v10, v7
	ds_load_2addr_b32 v[7:8], v9 offset1:1
	ds_load_b32 v11, v9 offset:68
	s_wait_dscnt 0x1
	v_add_nc_u32_e32 v7, v10, v7
	s_wait_dscnt 0x0
	v_subrev_nc_u32_e32 v10, s25, v11
	v_subrev_nc_u32_e32 v8, s25, v8
	s_delay_alu instid0(VALU_DEP_1)
	v_max3_i32 v7, v7, v10, v8
	ds_store_b32 v9, v7 offset:72
.LBB1_18:
	s_or_b32 exec_lo, exec_lo, s7
	v_cmp_gt_u32_e64 s7, 9, v0
	s_wait_loadcnt_dscnt 0x0
	s_barrier_signal -1
	s_barrier_wait -1
	global_inv scope:SCOPE_SE
	s_and_saveexec_b32 s8, s7
	s_cbranch_execz .LBB1_20
; %bb.19:
	v_sub_nc_u32_e32 v7, 8, v0
	s_delay_alu instid0(VALU_DEP_1) | instskip(SKIP_1) | instid1(VALU_DEP_2)
	v_mul_u32_u24_e32 v8, 17, v7
	v_lshl_add_u32 v7, v7, 6, v6
	v_lshl_add_u32 v9, v8, 2, v5
	ds_load_b32 v10, v7
	ds_load_2addr_b32 v[7:8], v9 offset1:1
	ds_load_b32 v11, v9 offset:68
	s_wait_dscnt 0x1
	v_add_nc_u32_e32 v7, v10, v7
	s_wait_dscnt 0x0
	v_subrev_nc_u32_e32 v10, s25, v11
	v_subrev_nc_u32_e32 v8, s25, v8
	s_delay_alu instid0(VALU_DEP_1)
	v_max3_i32 v7, v7, v10, v8
	ds_store_b32 v9, v7 offset:72
.LBB1_20:
	;; [unrolled: 26-line block ×8, first 2 shown]
	s_wait_alu 0xfffe
	s_or_b32 exec_lo, exec_lo, s24
	v_sub_co_u32 v9, s24, 15, v0
	s_xor_b32 s24, s24, -1
	s_wait_loadcnt_dscnt 0x0
	s_barrier_signal -1
	v_mul_i32_i24_e32 v7, 17, v9
	v_lshlrev_b32_e32 v8, 6, v9
	s_barrier_wait -1
	global_inv scope:SCOPE_SE
	s_wait_alu 0xfffe
	s_and_saveexec_b32 s33, s24
	s_delay_alu instid0(SALU_CYCLE_1)
	s_xor_b32 s24, exec_lo, s33
	s_cbranch_execz .LBB1_34
; %bb.33:
	v_lshlrev_b32_e32 v8, 6, v9
	v_lshl_add_u32 v11, v7, 2, v5
	s_delay_alu instid0(VALU_DEP_2)
	v_add_nc_u32_e32 v6, v6, v8
	ds_load_2addr_b32 v[9:10], v11 offset1:1
	ds_load_b32 v6, v6
	ds_load_b32 v12, v11 offset:68
	s_wait_dscnt 0x2
	v_subrev_nc_u32_e32 v10, s25, v10
	s_wait_dscnt 0x1
	v_add_nc_u32_e32 v6, v6, v9
	s_wait_dscnt 0x0
	v_subrev_nc_u32_e32 v9, s25, v12
	s_delay_alu instid0(VALU_DEP_1)
	v_max3_i32 v6, v6, v9, v10
	ds_store_b32 v11, v6 offset:72
.LBB1_34:
	s_wait_alu 0xfffe
	s_and_not1_saveexec_b32 s24, s24
	s_wait_alu 0xfffe
	s_or_b32 exec_lo, exec_lo, s24
	v_sub_nc_u32_e32 v0, 16, v0
	v_lshlrev_b32_e32 v6, 2, v7
	v_add_nc_u32_e32 v7, 0x490, v8
	s_wait_loadcnt_dscnt 0x0
	s_barrier_signal -1
	v_mul_i32_i24_e32 v0, 0x44, v0
	s_barrier_wait -1
	global_inv scope:SCOPE_SE
	s_and_saveexec_b32 s24, s13
	s_cbranch_execz .LBB1_36
; %bb.35:
	v_add_nc_u32_e32 v8, v6, v5
	v_add_nc_u32_e32 v10, v7, v5
	;; [unrolled: 1-line block ×3, first 2 shown]
	ds_load_2addr_b32 v[8:9], v8 offset0:1 offset1:2
	ds_load_b32 v10, v10 offset:4
	ds_load_b32 v12, v11 offset:4
	s_wait_dscnt 0x2
	v_subrev_nc_u32_e32 v9, s25, v9
	s_wait_dscnt 0x1
	v_add_nc_u32_e32 v8, v10, v8
	s_wait_dscnt 0x0
	v_subrev_nc_u32_e32 v10, s25, v12
	s_delay_alu instid0(VALU_DEP_1)
	v_max3_i32 v8, v8, v10, v9
	ds_store_b32 v11, v8 offset:8
.LBB1_36:
	s_wait_alu 0xfffe
	s_or_b32 exec_lo, exec_lo, s24
	s_wait_loadcnt_dscnt 0x0
	s_barrier_signal -1
	s_barrier_wait -1
	global_inv scope:SCOPE_SE
	s_and_saveexec_b32 s13, s12
	s_cbranch_execz .LBB1_38
; %bb.37:
	v_add_nc_u32_e32 v8, v6, v5
	v_add_nc_u32_e32 v10, v7, v5
	v_add_nc_u32_e32 v11, v0, v5
	ds_load_2addr_b32 v[8:9], v8 offset0:2 offset1:3
	ds_load_b32 v10, v10 offset:8
	ds_load_b32 v12, v11 offset:8
	s_wait_dscnt 0x2
	v_subrev_nc_u32_e32 v9, s25, v9
	s_wait_dscnt 0x1
	v_add_nc_u32_e32 v8, v10, v8
	s_wait_dscnt 0x0
	v_subrev_nc_u32_e32 v10, s25, v12
	s_delay_alu instid0(VALU_DEP_1)
	v_max3_i32 v8, v8, v10, v9
	ds_store_b32 v11, v8 offset:12
.LBB1_38:
	s_or_b32 exec_lo, exec_lo, s13
	s_wait_loadcnt_dscnt 0x0
	s_barrier_signal -1
	s_barrier_wait -1
	global_inv scope:SCOPE_SE
	s_and_saveexec_b32 s12, s11
	s_cbranch_execz .LBB1_40
; %bb.39:
	v_add_nc_u32_e32 v8, v6, v5
	v_add_nc_u32_e32 v10, v7, v5
	v_add_nc_u32_e32 v11, v0, v5
	ds_load_2addr_b32 v[8:9], v8 offset0:3 offset1:4
	ds_load_b32 v10, v10 offset:12
	ds_load_b32 v12, v11 offset:12
	s_wait_dscnt 0x2
	v_subrev_nc_u32_e32 v9, s25, v9
	s_wait_dscnt 0x1
	v_add_nc_u32_e32 v8, v10, v8
	s_wait_dscnt 0x0
	v_subrev_nc_u32_e32 v10, s25, v12
	s_delay_alu instid0(VALU_DEP_1)
	v_max3_i32 v8, v8, v10, v9
	ds_store_b32 v11, v8 offset:16
.LBB1_40:
	;; [unrolled: 24-line block ×9, first 2 shown]
	s_wait_alu 0xfffe
	s_or_b32 exec_lo, exec_lo, s5
	s_wait_loadcnt_dscnt 0x0
	s_barrier_signal -1
	s_barrier_wait -1
	global_inv scope:SCOPE_SE
	s_and_saveexec_b32 s4, s3
	s_cbranch_execz .LBB1_56
; %bb.55:
	v_add_nc_u32_e32 v8, v6, v5
	v_add_nc_u32_e32 v10, v7, v5
	v_add_nc_u32_e32 v11, v0, v5
	ds_load_2addr_b32 v[8:9], v8 offset0:11 offset1:12
	ds_load_b32 v10, v10 offset:44
	ds_load_b32 v12, v11 offset:44
	s_wait_dscnt 0x2
	v_subrev_nc_u32_e32 v9, s25, v9
	s_wait_dscnt 0x1
	v_add_nc_u32_e32 v8, v10, v8
	s_wait_dscnt 0x0
	v_subrev_nc_u32_e32 v10, s25, v12
	s_delay_alu instid0(VALU_DEP_1)
	v_max3_i32 v8, v8, v10, v9
	ds_store_b32 v11, v8 offset:48
.LBB1_56:
	s_wait_alu 0xfffe
	s_or_b32 exec_lo, exec_lo, s4
	s_wait_loadcnt_dscnt 0x0
	s_barrier_signal -1
	s_barrier_wait -1
	global_inv scope:SCOPE_SE
	s_and_saveexec_b32 s3, s2
	s_cbranch_execz .LBB1_58
; %bb.57:
	v_add_nc_u32_e32 v8, v6, v5
	v_add_nc_u32_e32 v10, v7, v5
	v_add_nc_u32_e32 v11, v0, v5
	ds_load_2addr_b32 v[8:9], v8 offset0:12 offset1:13
	ds_load_b32 v10, v10 offset:48
	ds_load_b32 v12, v11 offset:48
	s_wait_dscnt 0x2
	v_subrev_nc_u32_e32 v9, s25, v9
	s_wait_dscnt 0x1
	v_add_nc_u32_e32 v8, v10, v8
	s_wait_dscnt 0x0
	v_subrev_nc_u32_e32 v10, s25, v12
	s_delay_alu instid0(VALU_DEP_1)
	v_max3_i32 v8, v8, v10, v9
	ds_store_b32 v11, v8 offset:52
.LBB1_58:
	;; [unrolled: 25-line block ×4, first 2 shown]
	s_wait_alu 0xfffe
	s_or_b32 exec_lo, exec_lo, s1
	s_wait_loadcnt_dscnt 0x0
	s_barrier_signal -1
	s_barrier_wait -1
	global_inv scope:SCOPE_SE
	s_and_saveexec_b32 s0, vcc_lo
	s_cbranch_execz .LBB1_64
; %bb.63:
	ds_load_2addr_b32 v[8:9], v6 offset0:15 offset1:16
	ds_load_b32 v6, v7 offset:60
	ds_load_b32 v7, v0 offset:60
	s_wait_dscnt 0x1
	v_add_nc_u32_e32 v6, v6, v8
	s_wait_dscnt 0x0
	v_subrev_nc_u32_e32 v7, s25, v7
	v_subrev_nc_u32_e32 v8, s25, v9
	s_delay_alu instid0(VALU_DEP_1)
	v_max3_i32 v6, v6, v7, v8
	ds_store_b32 v0, v6 offset:64
.LBB1_64:
	s_wait_alu 0xfffe
	s_or_b32 exec_lo, exec_lo, s0
	v_add_co_u32 v6, vcc_lo, s20, v1
	s_delay_alu instid0(VALU_DEP_1)
	v_add_co_ci_u32_e64 v7, null, s21, v2, vcc_lo
	v_add_co_u32 v8, vcc_lo, s26, v1
	s_wait_alu 0xfffd
	v_add_co_ci_u32_e64 v9, null, s27, v2, vcc_lo
	v_add_co_u32 v10, vcc_lo, s18, v1
	s_wait_alu 0xfffd
	;; [unrolled: 3-line block ×8, first 2 shown]
	v_add_co_ci_u32_e64 v23, null, s41, v2, vcc_lo
	v_add_co_u32 v24, vcc_lo, s42, v1
	s_wait_loadcnt_dscnt 0x0
	s_barrier_signal -1
	s_barrier_wait -1
	global_inv scope:SCOPE_SE
	ds_load_2addr_b32 v[30:31], v5 offset0:18 offset1:35
	s_wait_alu 0xfffd
	v_add_co_ci_u32_e64 v25, null, s43, v2, vcc_lo
	v_add_co_u32 v26, vcc_lo, s44, v1
	ds_load_2addr_b32 v[34:35], v5 offset0:52 offset1:69
	s_wait_alu 0xfffd
	v_add_co_ci_u32_e64 v27, null, s45, v2, vcc_lo
	v_add_co_u32 v28, vcc_lo, s48, v1
	s_wait_alu 0xfffd
	v_add_co_ci_u32_e64 v29, null, s49, v2, vcc_lo
	v_add_co_u32 v32, vcc_lo, s46, v1
	;; [unrolled: 3-line block ×3, first 2 shown]
	v_lshlrev_b64_e32 v[6:7], 2, v[6:7]
	s_wait_alu 0xfffd
	v_add_co_ci_u32_e64 v4, null, s15, v4, vcc_lo
	s_delay_alu instid0(VALU_DEP_3) | instskip(SKIP_2) | instid1(VALU_DEP_3)
	v_add_co_u32 v36, vcc_lo, v3, s14
	v_lshlrev_b64_e32 v[12:13], 2, v[12:13]
	s_wait_alu 0xfffd
	v_add_co_ci_u32_e64 v37, null, s15, v4, vcc_lo
	v_add_co_u32 v6, vcc_lo, s16, v6
	s_wait_alu 0xfffd
	v_add_co_ci_u32_e64 v7, null, s17, v7, vcc_lo
	s_wait_dscnt 0x1
	s_clause 0x1
	global_store_b32 v[3:4], v30, off offset:4
	global_store_b32 v[36:37], v31, off offset:4
	v_add_co_u32 v0, vcc_lo, s22, v1
	s_wait_dscnt 0x0
	global_store_b32 v[6:7], v34, off offset:4
	ds_load_2addr_b32 v[6:7], v5 offset0:86 offset1:103
	s_wait_alu 0xfffd
	v_add_co_ci_u32_e64 v1, null, s23, v2, vcc_lo
	v_lshlrev_b64_e32 v[2:3], 2, v[8:9]
	v_lshlrev_b64_e32 v[8:9], 2, v[10:11]
	ds_load_2addr_b32 v[10:11], v5 offset0:120 offset1:137
	v_lshlrev_b64_e32 v[14:15], 2, v[14:15]
	v_lshlrev_b64_e32 v[0:1], 2, v[0:1]
	v_add_co_u32 v2, vcc_lo, s16, v2
	s_wait_alu 0xfffd
	v_add_co_ci_u32_e64 v3, null, s17, v3, vcc_lo
	v_add_co_u32 v8, vcc_lo, s16, v8
	s_wait_alu 0xfffd
	v_add_co_ci_u32_e64 v9, null, s17, v9, vcc_lo
	;; [unrolled: 3-line block ×3, first 2 shown]
	v_add_co_u32 v14, vcc_lo, s16, v14
	global_store_b32 v[2:3], v35, off offset:4
	s_wait_dscnt 0x1
	s_clause 0x1
	global_store_b32 v[8:9], v6, off offset:4
	global_store_b32 v[12:13], v7, off offset:4
	ds_load_2addr_b32 v[6:7], v5 offset0:154 offset1:171
	s_wait_alu 0xfffd
	v_add_co_ci_u32_e64 v15, null, s17, v15, vcc_lo
	ds_load_2addr_b32 v[12:13], v5 offset0:188 offset1:205
	v_lshlrev_b64_e32 v[2:3], 2, v[16:17]
	v_lshlrev_b64_e32 v[8:9], 2, v[18:19]
	s_wait_dscnt 0x2
	global_store_b32 v[14:15], v10, off offset:4
	v_lshlrev_b64_e32 v[14:15], 2, v[20:21]
	v_lshlrev_b64_e32 v[16:17], 2, v[22:23]
	v_add_nc_u32_e32 v10, 0x400, v5
	v_add_co_u32 v2, vcc_lo, s16, v2
	s_wait_alu 0xfffd
	v_add_co_ci_u32_e64 v3, null, s17, v3, vcc_lo
	v_add_co_u32 v8, vcc_lo, s16, v8
	s_wait_alu 0xfffd
	v_add_co_ci_u32_e64 v9, null, s17, v9, vcc_lo
	;; [unrolled: 3-line block ×4, first 2 shown]
	global_store_b32 v[2:3], v11, off offset:4
	s_wait_dscnt 0x1
	s_clause 0x1
	global_store_b32 v[8:9], v6, off offset:4
	global_store_b32 v[14:15], v7, off offset:4
	s_wait_dscnt 0x0
	global_store_b32 v[16:17], v12, off offset:4
	ds_load_2addr_b32 v[4:5], v5 offset0:222 offset1:239
	v_lshlrev_b64_e32 v[2:3], 2, v[24:25]
	ds_load_2addr_b32 v[10:11], v10 offset1:17
	v_lshlrev_b64_e32 v[6:7], 2, v[26:27]
	v_lshlrev_b64_e32 v[8:9], 2, v[28:29]
	;; [unrolled: 1-line block ×3, first 2 shown]
	v_add_co_u32 v2, vcc_lo, s16, v2
	s_wait_alu 0xfffd
	v_add_co_ci_u32_e64 v3, null, s17, v3, vcc_lo
	v_add_co_u32 v6, vcc_lo, s16, v6
	s_wait_alu 0xfffd
	v_add_co_ci_u32_e64 v7, null, s17, v7, vcc_lo
	;; [unrolled: 3-line block ×5, first 2 shown]
	global_store_b32 v[2:3], v13, off offset:4
	s_wait_dscnt 0x1
	s_clause 0x1
	global_store_b32 v[6:7], v4, off offset:4
	global_store_b32 v[8:9], v5, off offset:4
	s_wait_dscnt 0x0
	s_clause 0x1
	global_store_b32 v[14:15], v10, off offset:4
	global_store_b32 v[0:1], v11, off offset:4
	s_endpgm
	.section	.rodata,"a",@progbits
	.p2align	6, 0x0
	.amdhsa_kernel _Z7kernel2PiPKiiiiiii
		.amdhsa_group_segment_fixed_size 2192
		.amdhsa_private_segment_fixed_size 0
		.amdhsa_kernarg_size 40
		.amdhsa_user_sgpr_count 2
		.amdhsa_user_sgpr_dispatch_ptr 0
		.amdhsa_user_sgpr_queue_ptr 0
		.amdhsa_user_sgpr_kernarg_segment_ptr 1
		.amdhsa_user_sgpr_dispatch_id 0
		.amdhsa_user_sgpr_private_segment_size 0
		.amdhsa_wavefront_size32 1
		.amdhsa_uses_dynamic_stack 0
		.amdhsa_enable_private_segment 0
		.amdhsa_system_sgpr_workgroup_id_x 1
		.amdhsa_system_sgpr_workgroup_id_y 0
		.amdhsa_system_sgpr_workgroup_id_z 0
		.amdhsa_system_sgpr_workgroup_info 0
		.amdhsa_system_vgpr_workitem_id 0
		.amdhsa_next_free_vgpr 38
		.amdhsa_next_free_sgpr 50
		.amdhsa_reserve_vcc 1
		.amdhsa_float_round_mode_32 0
		.amdhsa_float_round_mode_16_64 0
		.amdhsa_float_denorm_mode_32 3
		.amdhsa_float_denorm_mode_16_64 3
		.amdhsa_fp16_overflow 0
		.amdhsa_workgroup_processor_mode 1
		.amdhsa_memory_ordered 1
		.amdhsa_forward_progress 1
		.amdhsa_inst_pref_size 48
		.amdhsa_round_robin_scheduling 0
		.amdhsa_exception_fp_ieee_invalid_op 0
		.amdhsa_exception_fp_denorm_src 0
		.amdhsa_exception_fp_ieee_div_zero 0
		.amdhsa_exception_fp_ieee_overflow 0
		.amdhsa_exception_fp_ieee_underflow 0
		.amdhsa_exception_fp_ieee_inexact 0
		.amdhsa_exception_int_div_zero 0
	.end_amdhsa_kernel
	.text
.Lfunc_end1:
	.size	_Z7kernel2PiPKiiiiiii, .Lfunc_end1-_Z7kernel2PiPKiiiiiii
                                        ; -- End function
	.set _Z7kernel2PiPKiiiiiii.num_vgpr, 38
	.set _Z7kernel2PiPKiiiiiii.num_agpr, 0
	.set _Z7kernel2PiPKiiiiiii.numbered_sgpr, 50
	.set _Z7kernel2PiPKiiiiiii.num_named_barrier, 0
	.set _Z7kernel2PiPKiiiiiii.private_seg_size, 0
	.set _Z7kernel2PiPKiiiiiii.uses_vcc, 1
	.set _Z7kernel2PiPKiiiiiii.uses_flat_scratch, 0
	.set _Z7kernel2PiPKiiiiiii.has_dyn_sized_stack, 0
	.set _Z7kernel2PiPKiiiiiii.has_recursion, 0
	.set _Z7kernel2PiPKiiiiiii.has_indirect_call, 0
	.section	.AMDGPU.csdata,"",@progbits
; Kernel info:
; codeLenInByte = 6136
; TotalNumSgprs: 52
; NumVgprs: 38
; ScratchSize: 0
; MemoryBound: 0
; FloatMode: 240
; IeeeMode: 1
; LDSByteSize: 2192 bytes/workgroup (compile time only)
; SGPRBlocks: 0
; VGPRBlocks: 4
; NumSGPRsForWavesPerEU: 52
; NumVGPRsForWavesPerEU: 38
; Occupancy: 16
; WaveLimiterHint : 0
; COMPUTE_PGM_RSRC2:SCRATCH_EN: 0
; COMPUTE_PGM_RSRC2:USER_SGPR: 2
; COMPUTE_PGM_RSRC2:TRAP_HANDLER: 0
; COMPUTE_PGM_RSRC2:TGID_X_EN: 1
; COMPUTE_PGM_RSRC2:TGID_Y_EN: 0
; COMPUTE_PGM_RSRC2:TGID_Z_EN: 0
; COMPUTE_PGM_RSRC2:TIDIG_COMP_CNT: 0
	.text
	.p2alignl 7, 3214868480
	.fill 96, 4, 3214868480
	.section	.AMDGPU.gpr_maximums,"",@progbits
	.set amdgpu.max_num_vgpr, 0
	.set amdgpu.max_num_agpr, 0
	.set amdgpu.max_num_sgpr, 0
	.text
	.type	__hip_cuid_dd2bcf5a9f771028,@object ; @__hip_cuid_dd2bcf5a9f771028
	.section	.bss,"aw",@nobits
	.globl	__hip_cuid_dd2bcf5a9f771028
__hip_cuid_dd2bcf5a9f771028:
	.byte	0                               ; 0x0
	.size	__hip_cuid_dd2bcf5a9f771028, 1

	.ident	"AMD clang version 22.0.0git (https://github.com/RadeonOpenCompute/llvm-project roc-7.2.4 26084 f58b06dce1f9c15707c5f808fd002e18c2accf7e)"
	.section	".note.GNU-stack","",@progbits
	.addrsig
	.addrsig_sym __hip_cuid_dd2bcf5a9f771028
	.amdgpu_metadata
---
amdhsa.kernels:
  - .args:
      - .address_space:  global
        .offset:         0
        .size:           8
        .value_kind:     global_buffer
      - .actual_access:  read_only
        .address_space:  global
        .offset:         8
        .size:           8
        .value_kind:     global_buffer
      - .offset:         16
        .size:           4
        .value_kind:     by_value
      - .offset:         20
        .size:           4
        .value_kind:     by_value
      - .offset:         24
        .size:           4
        .value_kind:     by_value
      - .offset:         28
        .size:           4
        .value_kind:     by_value
      - .offset:         32
        .size:           4
        .value_kind:     by_value
    .group_segment_fixed_size: 2192
    .kernarg_segment_align: 8
    .kernarg_segment_size: 36
    .language:       OpenCL C
    .language_version:
      - 2
      - 0
    .max_flat_workgroup_size: 1024
    .name:           _Z7kernel1PiPKiiiiii
    .private_segment_fixed_size: 0
    .sgpr_count:     52
    .sgpr_spill_count: 0
    .symbol:         _Z7kernel1PiPKiiiiii.kd
    .uniform_work_group_size: 1
    .uses_dynamic_stack: false
    .vgpr_count:     38
    .vgpr_spill_count: 0
    .wavefront_size: 32
    .workgroup_processor_mode: 1
  - .args:
      - .address_space:  global
        .offset:         0
        .size:           8
        .value_kind:     global_buffer
      - .actual_access:  read_only
        .address_space:  global
        .offset:         8
        .size:           8
        .value_kind:     global_buffer
      - .offset:         16
        .size:           4
        .value_kind:     by_value
      - .offset:         20
        .size:           4
        .value_kind:     by_value
      - .offset:         24
        .size:           4
        .value_kind:     by_value
      - .offset:         28
        .size:           4
        .value_kind:     by_value
      - .offset:         32
        .size:           4
        .value_kind:     by_value
      - .offset:         36
        .size:           4
        .value_kind:     by_value
    .group_segment_fixed_size: 2192
    .kernarg_segment_align: 8
    .kernarg_segment_size: 40
    .language:       OpenCL C
    .language_version:
      - 2
      - 0
    .max_flat_workgroup_size: 1024
    .name:           _Z7kernel2PiPKiiiiiii
    .private_segment_fixed_size: 0
    .sgpr_count:     52
    .sgpr_spill_count: 0
    .symbol:         _Z7kernel2PiPKiiiiiii.kd
    .uniform_work_group_size: 1
    .uses_dynamic_stack: false
    .vgpr_count:     38
    .vgpr_spill_count: 0
    .wavefront_size: 32
    .workgroup_processor_mode: 1
amdhsa.target:   amdgcn-amd-amdhsa--gfx1201
amdhsa.version:
  - 1
  - 2
...

	.end_amdgpu_metadata
